;; amdgpu-corpus repo=ROCm/rocFFT kind=compiled arch=gfx950 opt=O3
	.text
	.amdgcn_target "amdgcn-amd-amdhsa--gfx950"
	.amdhsa_code_object_version 6
	.protected	fft_rtc_fwd_len660_factors_11_6_10_wgs_110_tpt_110_halfLds_sp_op_CI_CI_unitstride_sbrr_dirReg ; -- Begin function fft_rtc_fwd_len660_factors_11_6_10_wgs_110_tpt_110_halfLds_sp_op_CI_CI_unitstride_sbrr_dirReg
	.globl	fft_rtc_fwd_len660_factors_11_6_10_wgs_110_tpt_110_halfLds_sp_op_CI_CI_unitstride_sbrr_dirReg
	.p2align	8
	.type	fft_rtc_fwd_len660_factors_11_6_10_wgs_110_tpt_110_halfLds_sp_op_CI_CI_unitstride_sbrr_dirReg,@function
fft_rtc_fwd_len660_factors_11_6_10_wgs_110_tpt_110_halfLds_sp_op_CI_CI_unitstride_sbrr_dirReg: ; @fft_rtc_fwd_len660_factors_11_6_10_wgs_110_tpt_110_halfLds_sp_op_CI_CI_unitstride_sbrr_dirReg
; %bb.0:
	s_load_dwordx4 s[4:7], s[0:1], 0x58
	s_load_dwordx4 s[8:11], s[0:1], 0x0
	;; [unrolled: 1-line block ×3, first 2 shown]
	v_mul_u32_u24_e32 v1, 0x254, v0
	v_add_u32_sdwa v10, s2, v1 dst_sel:DWORD dst_unused:UNUSED_PAD src0_sel:DWORD src1_sel:WORD_1
	v_mov_b32_e32 v8, 0
	s_waitcnt lgkmcnt(0)
	v_cmp_lt_u64_e64 s[2:3], s[10:11], 2
	v_mov_b32_e32 v11, v8
	s_and_b64 vcc, exec, s[2:3]
	v_mov_b64_e32 v[6:7], 0
	s_cbranch_vccnz .LBB0_8
; %bb.1:
	s_load_dwordx2 s[2:3], s[0:1], 0x10
	s_add_u32 s16, s14, 8
	s_addc_u32 s17, s15, 0
	s_add_u32 s18, s12, 8
	s_addc_u32 s19, s13, 0
	s_waitcnt lgkmcnt(0)
	s_add_u32 s20, s2, 8
	v_mov_b64_e32 v[6:7], 0
	s_addc_u32 s21, s3, 0
	s_mov_b64 s[22:23], 1
	v_mov_b64_e32 v[2:3], v[6:7]
.LBB0_2:                                ; =>This Inner Loop Header: Depth=1
	s_load_dwordx2 s[24:25], s[20:21], 0x0
                                        ; implicit-def: $vgpr4_vgpr5
	s_waitcnt lgkmcnt(0)
	v_or_b32_e32 v9, s25, v11
	v_cmp_ne_u64_e32 vcc, 0, v[8:9]
	s_and_saveexec_b64 s[2:3], vcc
	s_xor_b64 s[26:27], exec, s[2:3]
	s_cbranch_execz .LBB0_4
; %bb.3:                                ;   in Loop: Header=BB0_2 Depth=1
	v_cvt_f32_u32_e32 v1, s24
	v_cvt_f32_u32_e32 v4, s25
	s_sub_u32 s2, 0, s24
	s_subb_u32 s3, 0, s25
	v_fmac_f32_e32 v1, 0x4f800000, v4
	v_rcp_f32_e32 v1, v1
	s_nop 0
	v_mul_f32_e32 v1, 0x5f7ffffc, v1
	v_mul_f32_e32 v4, 0x2f800000, v1
	v_trunc_f32_e32 v4, v4
	v_fmac_f32_e32 v1, 0xcf800000, v4
	v_cvt_u32_f32_e32 v9, v4
	v_cvt_u32_f32_e32 v1, v1
	v_mul_lo_u32 v4, s2, v9
	v_mul_hi_u32 v12, s2, v1
	v_mul_lo_u32 v5, s3, v1
	v_add_u32_e32 v12, v12, v4
	v_mul_lo_u32 v14, s2, v1
	v_add_u32_e32 v15, v12, v5
	v_mul_hi_u32 v4, v1, v14
	v_mul_hi_u32 v13, v1, v15
	v_mul_lo_u32 v12, v1, v15
	v_mov_b32_e32 v5, v8
	v_lshl_add_u64 v[4:5], v[4:5], 0, v[12:13]
	v_mul_hi_u32 v13, v9, v14
	v_mul_lo_u32 v14, v9, v14
	v_add_co_u32_e32 v4, vcc, v4, v14
	v_mul_hi_u32 v12, v9, v15
	s_nop 0
	v_addc_co_u32_e32 v4, vcc, v5, v13, vcc
	v_mov_b32_e32 v5, v8
	s_nop 0
	v_addc_co_u32_e32 v13, vcc, 0, v12, vcc
	v_mul_lo_u32 v12, v9, v15
	v_lshl_add_u64 v[4:5], v[4:5], 0, v[12:13]
	v_add_co_u32_e32 v1, vcc, v1, v4
	v_mul_lo_u32 v12, s2, v1
	s_nop 0
	v_addc_co_u32_e32 v9, vcc, v9, v5, vcc
	v_mul_lo_u32 v4, s2, v9
	v_mul_hi_u32 v5, s2, v1
	v_add_u32_e32 v4, v5, v4
	v_mul_lo_u32 v5, s3, v1
	v_add_u32_e32 v14, v4, v5
	v_mul_hi_u32 v16, v9, v12
	v_mul_lo_u32 v17, v9, v12
	v_mul_hi_u32 v5, v1, v14
	v_mul_lo_u32 v4, v1, v14
	v_mul_hi_u32 v12, v1, v12
	v_mov_b32_e32 v13, v8
	v_lshl_add_u64 v[4:5], v[12:13], 0, v[4:5]
	v_add_co_u32_e32 v4, vcc, v4, v17
	v_mul_hi_u32 v15, v9, v14
	s_nop 0
	v_addc_co_u32_e32 v4, vcc, v5, v16, vcc
	v_mul_lo_u32 v12, v9, v14
	s_nop 0
	v_addc_co_u32_e32 v13, vcc, 0, v15, vcc
	v_mov_b32_e32 v5, v8
	v_lshl_add_u64 v[4:5], v[4:5], 0, v[12:13]
	v_add_co_u32_e32 v1, vcc, v1, v4
	v_mul_hi_u32 v12, v10, v1
	s_nop 0
	v_addc_co_u32_e32 v9, vcc, v9, v5, vcc
	v_mad_u64_u32 v[4:5], s[2:3], v10, v9, 0
	v_mov_b32_e32 v13, v8
	v_lshl_add_u64 v[4:5], v[12:13], 0, v[4:5]
	v_mad_u64_u32 v[14:15], s[2:3], v11, v1, 0
	v_add_co_u32_e32 v1, vcc, v4, v14
	v_mad_u64_u32 v[12:13], s[2:3], v11, v9, 0
	s_nop 0
	v_addc_co_u32_e32 v4, vcc, v5, v15, vcc
	v_mov_b32_e32 v5, v8
	s_nop 0
	v_addc_co_u32_e32 v13, vcc, 0, v13, vcc
	v_lshl_add_u64 v[4:5], v[4:5], 0, v[12:13]
	v_mul_lo_u32 v1, s25, v4
	v_mul_lo_u32 v9, s24, v5
	v_mad_u64_u32 v[12:13], s[2:3], s24, v4, 0
	v_add3_u32 v1, v13, v9, v1
	v_sub_u32_e32 v9, v11, v1
	v_mov_b32_e32 v13, s25
	v_sub_co_u32_e32 v16, vcc, v10, v12
	v_lshl_add_u64 v[14:15], v[4:5], 0, 1
	s_nop 0
	v_subb_co_u32_e64 v9, s[2:3], v9, v13, vcc
	v_subrev_co_u32_e64 v12, s[2:3], s24, v16
	v_subb_co_u32_e32 v1, vcc, v11, v1, vcc
	s_nop 0
	v_subbrev_co_u32_e64 v9, s[2:3], 0, v9, s[2:3]
	v_cmp_le_u32_e64 s[2:3], s25, v9
	v_cmp_le_u32_e32 vcc, s25, v1
	s_nop 0
	v_cndmask_b32_e64 v13, 0, -1, s[2:3]
	v_cmp_le_u32_e64 s[2:3], s24, v12
	s_nop 1
	v_cndmask_b32_e64 v12, 0, -1, s[2:3]
	v_cmp_eq_u32_e64 s[2:3], s25, v9
	s_nop 1
	v_cndmask_b32_e64 v9, v13, v12, s[2:3]
	v_lshl_add_u64 v[12:13], v[4:5], 0, 2
	v_cmp_ne_u32_e64 s[2:3], 0, v9
	s_nop 1
	v_cndmask_b32_e64 v9, v15, v13, s[2:3]
	v_cndmask_b32_e64 v13, 0, -1, vcc
	v_cmp_le_u32_e32 vcc, s24, v16
	s_nop 1
	v_cndmask_b32_e64 v15, 0, -1, vcc
	v_cmp_eq_u32_e32 vcc, s25, v1
	s_nop 1
	v_cndmask_b32_e32 v1, v13, v15, vcc
	v_cmp_ne_u32_e32 vcc, 0, v1
	v_cndmask_b32_e64 v1, v14, v12, s[2:3]
	s_nop 0
	v_cndmask_b32_e32 v5, v5, v9, vcc
	v_cndmask_b32_e32 v4, v4, v1, vcc
.LBB0_4:                                ;   in Loop: Header=BB0_2 Depth=1
	s_andn2_saveexec_b64 s[2:3], s[26:27]
	s_cbranch_execz .LBB0_6
; %bb.5:                                ;   in Loop: Header=BB0_2 Depth=1
	v_cvt_f32_u32_e32 v1, s24
	s_sub_i32 s26, 0, s24
	v_rcp_iflag_f32_e32 v1, v1
	s_nop 0
	v_mul_f32_e32 v1, 0x4f7ffffe, v1
	v_cvt_u32_f32_e32 v1, v1
	v_mul_lo_u32 v4, s26, v1
	v_mul_hi_u32 v4, v1, v4
	v_add_u32_e32 v1, v1, v4
	v_mul_hi_u32 v1, v10, v1
	v_mul_lo_u32 v4, v1, s24
	v_sub_u32_e32 v4, v10, v4
	v_add_u32_e32 v5, 1, v1
	v_subrev_u32_e32 v9, s24, v4
	v_cmp_le_u32_e32 vcc, s24, v4
	s_nop 1
	v_cndmask_b32_e32 v4, v4, v9, vcc
	v_cndmask_b32_e32 v1, v1, v5, vcc
	v_add_u32_e32 v5, 1, v1
	v_cmp_le_u32_e32 vcc, s24, v4
	s_nop 1
	v_cndmask_b32_e32 v4, v1, v5, vcc
	v_mov_b32_e32 v5, v8
.LBB0_6:                                ;   in Loop: Header=BB0_2 Depth=1
	s_or_b64 exec, exec, s[2:3]
	v_mad_u64_u32 v[12:13], s[2:3], v4, s24, 0
	s_load_dwordx2 s[2:3], s[18:19], 0x0
	v_mul_lo_u32 v1, v5, s24
	v_mul_lo_u32 v9, v4, s25
	s_load_dwordx2 s[24:25], s[16:17], 0x0
	s_add_u32 s22, s22, 1
	v_add3_u32 v1, v13, v9, v1
	v_sub_co_u32_e32 v9, vcc, v10, v12
	s_addc_u32 s23, s23, 0
	s_nop 0
	v_subb_co_u32_e32 v1, vcc, v11, v1, vcc
	s_add_u32 s16, s16, 8
	s_waitcnt lgkmcnt(0)
	v_mul_lo_u32 v10, s2, v1
	v_mul_lo_u32 v11, s3, v9
	v_mad_u64_u32 v[6:7], s[2:3], s2, v9, v[6:7]
	s_addc_u32 s17, s17, 0
	v_add3_u32 v7, v11, v7, v10
	v_mul_lo_u32 v1, s24, v1
	v_mul_lo_u32 v10, s25, v9
	v_mad_u64_u32 v[2:3], s[2:3], s24, v9, v[2:3]
	s_add_u32 s18, s18, 8
	v_add3_u32 v3, v10, v3, v1
	s_addc_u32 s19, s19, 0
	v_mov_b64_e32 v[10:11], s[10:11]
	s_add_u32 s20, s20, 8
	v_cmp_ge_u64_e32 vcc, s[22:23], v[10:11]
	s_addc_u32 s21, s21, 0
	s_cbranch_vccnz .LBB0_9
; %bb.7:                                ;   in Loop: Header=BB0_2 Depth=1
	v_mov_b64_e32 v[10:11], v[4:5]
	s_branch .LBB0_2
.LBB0_8:
	v_mov_b64_e32 v[2:3], v[6:7]
	v_mov_b64_e32 v[4:5], v[10:11]
.LBB0_9:
	s_load_dwordx2 s[0:1], s[0:1], 0x28
	s_mov_b32 s16, 0x253c826
	v_mul_hi_u32 v1, v0, s16
	v_mul_u32_u24_e32 v1, 0x6e, v1
	s_lshl_b64 s[2:3], s[10:11], 3
	v_sub_u32_e32 v0, v0, v1
	s_add_u32 s10, s14, s2
	s_waitcnt lgkmcnt(0)
	v_cmp_gt_u64_e32 vcc, s[0:1], v[4:5]
	v_cmp_gt_u32_e64 s[0:1], 60, v0
	v_mov_b32_e32 v23, 0
	s_addc_u32 s11, s15, s3
	s_and_b64 s[16:17], vcc, s[0:1]
	v_mov_b32_e32 v30, v23
                                        ; implicit-def: $vgpr52
                                        ; implicit-def: $vgpr12
                                        ; implicit-def: $vgpr34
                                        ; implicit-def: $vgpr48
                                        ; implicit-def: $vgpr20
                                        ; implicit-def: $vgpr24
                                        ; implicit-def: $vgpr14
                                        ; implicit-def: $vgpr16
                                        ; implicit-def: $vgpr32
                                        ; implicit-def: $vgpr18
                                        ; implicit-def: $vgpr10
	s_and_saveexec_b64 s[14:15], s[16:17]
	s_cbranch_execz .LBB0_11
; %bb.10:
	s_add_u32 s2, s12, s2
	s_addc_u32 s3, s13, s3
	s_load_dwordx2 s[2:3], s[2:3], 0x0
	v_mov_b32_e32 v1, 0
	s_waitcnt lgkmcnt(0)
	v_mul_lo_u32 v10, s3, v4
	v_mul_lo_u32 v11, s2, v5
	v_mad_u64_u32 v[8:9], s[2:3], s2, v4, 0
	v_add3_u32 v9, v9, v11, v10
	v_lshl_add_u64 v[8:9], v[8:9], 3, s[4:5]
	v_lshl_add_u64 v[6:7], v[6:7], 3, v[8:9]
	v_lshl_add_u64 v[6:7], v[0:1], 3, v[6:7]
	global_load_dwordx2 v[30:31], v[6:7], off
	global_load_dwordx2 v[10:11], v[6:7], off offset:480
	global_load_dwordx2 v[52:53], v[6:7], off offset:1440
	;; [unrolled: 1-line block ×4, first 2 shown]
	s_movk_i32 s2, 0x1000
	v_add_co_u32_e64 v8, s[2:3], s2, v6
	s_waitcnt vmcnt(4)
	v_mov_b32_e32 v23, v31
	v_addc_co_u32_e64 v9, s[2:3], 0, v7, s[2:3]
	global_load_dwordx2 v[16:17], v[6:7], off offset:3840
	global_load_dwordx2 v[18:19], v[8:9], off offset:224
	;; [unrolled: 1-line block ×6, first 2 shown]
	s_waitcnt vmcnt(8)
	v_mov_b32_e32 v34, v53
	s_waitcnt vmcnt(7)
	v_mov_b32_e32 v22, v49
	;; [unrolled: 2-line block ×3, first 2 shown]
.LBB0_11:
	s_or_b64 exec, exec, s[14:15]
	v_mov_b32_e32 v13, v35
	s_mov_b32 s2, 0xbe11bafb
	v_pk_add_f32 v[76:77], v[10:11], v[12:13]
	s_mov_b32 s3, 0x3ed4b147
	s_mov_b32 s18, 0xbf7d64f0
	s_mov_b32 s4, 0xbf75a155
	v_pk_add_f32 v[54:55], v[10:11], v[12:13] neg_lo:[0,1] neg_hi:[0,1]
	s_waitcnt vmcnt(0)
	v_pk_add_f32 v[44:45], v[32:33], v[18:19]
	v_mov_b32_e32 v53, v34
	v_pk_mul_f32 v[56:57], v[76:77], s[2:3] op_sel_hi:[0,1]
	s_mov_b32 s19, 0xbf68dda4
	s_mov_b32 s5, 0xbf27a4f4
	;; [unrolled: 1-line block ×3, first 2 shown]
	v_pk_add_f32 v[46:47], v[32:33], v[18:19] neg_lo:[0,1] neg_hi:[0,1]
	v_pk_add_f32 v[40:41], v[52:53], v[16:17]
	v_pk_fma_f32 v[6:7], v[54:55], s[18:19], v[56:57] op_sel:[1,0,0]
	v_pk_mul_f32 v[58:59], v[44:45], s[4:5] op_sel_hi:[0,1]
	s_mov_b32 s21, 0xbf4178ce
	s_mov_b32 s12, s3
	;; [unrolled: 1-line block ×3, first 2 shown]
	v_pk_add_f32 v[42:43], v[52:53], v[16:17] neg_lo:[0,1] neg_hi:[0,1]
	v_pk_add_f32 v[36:37], v[24:25], v[14:15]
	v_mov_b32_e32 v49, v22
	v_pk_add_f32 v[6:7], v[30:31], v[6:7] op_sel_hi:[0,1]
	v_pk_fma_f32 v[8:9], v[46:47], s[20:21], v[58:59] op_sel:[1,0,0]
	v_pk_mul_f32 v[60:61], v[40:41], s[12:13] op_sel_hi:[0,1]
	s_mov_b32 s22, 0x3f68dda4
	s_mov_b32 s23, s20
	;; [unrolled: 1-line block ×5, first 2 shown]
	v_pk_add_f32 v[38:39], v[24:25], v[14:15] neg_lo:[0,1] neg_hi:[0,1]
	v_pk_add_f32 v[26:27], v[20:21], v[48:49]
	v_pk_add_f32 v[6:7], v[6:7], v[8:9]
	v_pk_fma_f32 v[8:9], v[42:43], s[22:23], v[60:61] op_sel:[1,0,0]
	v_pk_mul_f32 v[62:63], v[36:37], s[14:15] op_sel_hi:[0,1]
	s_mov_b32 s25, 0x3f7d64f0
	s_mov_b32 s16, s5
	;; [unrolled: 1-line block ×3, first 2 shown]
	v_pk_add_f32 v[28:29], v[20:21], v[48:49] neg_lo:[0,1] neg_hi:[0,1]
	v_pk_add_f32 v[6:7], v[6:7], v[8:9]
	v_pk_fma_f32 v[8:9], v[38:39], s[24:25], v[62:63] op_sel:[1,0,0]
	v_pk_mul_f32 v[64:65], v[26:27], s[16:17] op_sel_hi:[0,1]
	s_mov_b32 s27, 0x3f0a6770
	s_mov_b32 s26, s21
	v_pk_add_f32 v[6:7], v[6:7], v[8:9]
	v_pk_fma_f32 v[8:9], v[28:29], s[26:27], v[64:65] op_sel:[1,0,0]
	v_pk_mul_f32 v[66:67], v[76:77], s[4:5] op_sel_hi:[0,1]
	s_mov_b32 s28, 0xbe903f40
	s_mov_b32 s29, s21
	v_pk_add_f32 v[6:7], v[6:7], v[8:9]
	v_pk_fma_f32 v[8:9], v[54:55], s[28:29], v[66:67] op_sel:[1,0,0]
	s_mov_b32 s30, s27
	s_mov_b32 s31, s25
	v_pk_mul_f32 v[68:69], v[44:45], s[14:15] op_sel_hi:[0,1]
	v_pk_add_f32 v[8:9], v[30:31], v[8:9] op_sel_hi:[0,1]
	v_pk_fma_f32 v[50:51], v[46:47], s[30:31], v[68:69] op_sel:[1,0,0]
	s_mov_b32 s34, s21
	s_mov_b32 s35, s24
	v_pk_mul_f32 v[70:71], v[40:41], s[16:17] op_sel_hi:[0,1]
	v_pk_add_f32 v[8:9], v[8:9], v[50:51]
	v_pk_fma_f32 v[50:51], v[42:43], s[34:35], v[70:71] op_sel:[1,0,0]
	s_mov_b32 s36, s22
	s_mov_b32 s37, s28
	v_pk_mul_f32 v[72:73], v[36:37], s[12:13] op_sel_hi:[0,1]
	v_pk_add_f32 v[8:9], v[8:9], v[50:51]
	;; [unrolled: 5-line block ×3, first 2 shown]
	v_pk_fma_f32 v[50:51], v[28:29], s[38:39], v[74:75] op_sel:[1,0,0]
	s_nop 0
	v_pk_add_f32 v[8:9], v[8:9], v[50:51]
	v_mov_b32_e32 v50, v35
	s_and_saveexec_b64 s[40:41], s[0:1]
	s_cbranch_execz .LBB0_13
; %bb.12:
	v_mov_b32_e32 v77, v55
	s_mov_b32 s42, s14
	s_mov_b32 s43, s24
	v_pk_mul_f32 v[78:79], v[76:77], s[42:43]
	v_mov_b32_e32 v80, v44
	v_mov_b32_e32 v1, v78
	v_pk_fma_f32 v[76:77], v[76:77], s[42:43], v[0:1] neg_lo:[1,0,0] neg_hi:[1,0,0]
	v_mov_b32_e32 v81, v47
	s_mov_b32 s42, s3
	s_mov_b32 s43, s19
	v_pk_mul_f32 v[82:83], v[80:81], s[42:43]
	v_mov_b32_e32 v84, v40
	v_mov_b32_e32 v1, v82
	v_pk_fma_f32 v[80:81], v[80:81], s[42:43], v[0:1] neg_lo:[1,0,0] neg_hi:[1,0,0]
	;; [unrolled: 7-line block ×5, first 2 shown]
	v_add_f32_e32 v1, v49, v10
	v_add_f32_e32 v1, v1, v32
	;; [unrolled: 1-line block ×7, first 2 shown]
	v_pk_add_f32 v[48:49], v[76:77], v[48:49]
	v_mov_b32_e32 v80, v14
	v_add_f32_e32 v13, v83, v82
	v_pk_add_f32 v[48:49], v[80:81], v[48:49]
	v_mov_b32_e32 v84, v16
	v_add_f32_e32 v1, v1, v13
	v_add_f32_e32 v13, v87, v86
	v_pk_add_f32 v[48:49], v[84:85], v[48:49]
	v_mov_b32_e32 v88, v18
	v_add_f32_e32 v1, v1, v13
	v_add_f32_e32 v13, v91, v90
	v_pk_add_f32 v[48:49], v[88:89], v[48:49]
	v_add_f32_e32 v1, v1, v13
	v_mov_b32_e32 v13, v93
	v_pk_mul_f32 v[52:53], v[54:55], s[18:19] op_sel:[1,0]
	v_mad_u32_u24 v16, v0, 44, 0
	v_pk_add_f32 v[48:49], v[12:13], v[48:49]
	v_mov_b32_e32 v31, v30
	ds_write2_b32 v16, v48, v49 offset1:1
	v_pk_mul_f32 v[48:49], v[46:47], s[20:21] op_sel:[1,0]
	v_pk_add_f32 v[52:53], v[56:57], v[52:53] neg_lo:[0,1] neg_hi:[0,1]
	v_pk_mul_f32 v[56:57], v[42:43], s[22:23] op_sel:[1,0]
	v_pk_add_f32 v[48:49], v[58:59], v[48:49] neg_lo:[0,1] neg_hi:[0,1]
	v_pk_add_f32 v[52:53], v[30:31], v[52:53]
	v_pk_mul_f32 v[58:59], v[38:39], s[24:25] op_sel:[1,0]
	v_pk_add_f32 v[48:49], v[52:53], v[48:49]
	v_pk_add_f32 v[56:57], v[60:61], v[56:57] neg_lo:[0,1] neg_hi:[0,1]
	v_pk_mul_f32 v[52:53], v[28:29], s[26:27] op_sel:[1,0]
	v_pk_add_f32 v[48:49], v[48:49], v[56:57]
	v_pk_add_f32 v[58:59], v[62:63], v[58:59] neg_lo:[0,1] neg_hi:[0,1]
	v_pk_add_f32 v[52:53], v[64:65], v[52:53] neg_lo:[0,1] neg_hi:[0,1]
	v_pk_add_f32 v[48:49], v[48:49], v[58:59]
	v_pk_mul_f32 v[54:55], v[54:55], s[28:29] op_sel:[1,0]
	v_pk_add_f32 v[48:49], v[48:49], v[52:53]
	v_pk_mul_f32 v[60:61], v[46:47], s[30:31] op_sel:[1,0]
	ds_write2_b32 v16, v49, v48 offset0:2 offset1:3
	v_pk_add_f32 v[48:49], v[66:67], v[54:55] neg_lo:[0,1] neg_hi:[0,1]
	v_pk_mul_f32 v[56:57], v[42:43], s[34:35] op_sel:[1,0]
	v_pk_add_f32 v[30:31], v[30:31], v[48:49]
	v_pk_add_f32 v[48:49], v[68:69], v[60:61] neg_lo:[0,1] neg_hi:[0,1]
	v_pk_mul_f32 v[62:63], v[38:39], s[36:37] op_sel:[1,0]
	v_pk_add_f32 v[30:31], v[30:31], v[48:49]
	;; [unrolled: 3-line block ×3, first 2 shown]
	v_pk_add_f32 v[48:49], v[72:73], v[62:63] neg_lo:[0,1] neg_hi:[0,1]
	v_add_f32_e32 v14, v95, v94
	v_pk_add_f32 v[30:31], v[30:31], v[48:49]
	v_pk_add_f32 v[48:49], v[74:75], v[58:59] neg_lo:[0,1] neg_hi:[0,1]
	v_add_f32_e32 v13, v1, v14
	v_pk_add_f32 v[30:31], v[30:31], v[48:49]
	ds_write2_b32 v16, v31, v30 offset0:4 offset1:5
	ds_write2_b32 v16, v8, v9 offset0:6 offset1:7
	;; [unrolled: 1-line block ×3, first 2 shown]
	ds_write_b32 v16, v13 offset:40
	v_mov_b32_e32 v14, v31
	v_mov_b32_e32 v1, v30
.LBB0_13:
	s_or_b64 exec, exec, s[40:41]
	v_pk_add_f32 v[30:31], v[22:23], v[10:11]
	v_sub_f32_e32 v14, v10, v12
	v_pk_add_f32 v[30:31], v[30:31], v[32:33]
	v_pk_mul_f32 v[48:49], v[14:15], s[18:19] op_sel_hi:[0,1]
	v_mov_b32_e32 v10, v31
	v_pk_add_f32 v[70:71], v[10:11], v[34:35]
	v_pk_mul_f32 v[52:53], v[46:47], s[20:21] op_sel_hi:[0,1]
	v_pk_fma_f32 v[10:11], v[70:71], s[2:3], v[48:49] op_sel:[1,0,0] neg_lo:[0,0,1] neg_hi:[0,0,1]
	v_pk_fma_f32 v[12:13], v[44:45], s[4:5], v[52:53] op_sel:[1,0,0] neg_lo:[0,0,1] neg_hi:[0,0,1]
	v_pk_add_f32 v[10:11], v[22:23], v[10:11] op_sel:[1,0]
	v_pk_mul_f32 v[54:55], v[42:43], s[22:23] op_sel_hi:[0,1]
	v_pk_add_f32 v[10:11], v[10:11], v[12:13]
	v_pk_fma_f32 v[12:13], v[40:41], s[12:13], v[54:55] op_sel:[1,0,0] neg_lo:[0,0,1] neg_hi:[0,0,1]
	v_pk_mul_f32 v[56:57], v[38:39], s[24:25] op_sel_hi:[0,1]
	v_pk_add_f32 v[10:11], v[10:11], v[12:13]
	v_pk_fma_f32 v[12:13], v[36:37], s[14:15], v[56:57] op_sel:[1,0,0] neg_lo:[0,0,1] neg_hi:[0,0,1]
	;; [unrolled: 3-line block ×4, first 2 shown]
	v_pk_mul_f32 v[62:63], v[46:47], s[30:31] op_sel_hi:[0,1]
	v_pk_add_f32 v[12:13], v[22:23], v[12:13] op_sel:[1,0]
	v_pk_fma_f32 v[30:31], v[44:45], s[14:15], v[62:63] op_sel:[1,0,0] neg_lo:[0,0,1] neg_hi:[0,0,1]
	v_pk_mul_f32 v[64:65], v[42:43], s[34:35] op_sel_hi:[0,1]
	v_pk_add_f32 v[12:13], v[12:13], v[30:31]
	v_pk_fma_f32 v[30:31], v[40:41], s[16:17], v[64:65] op_sel:[1,0,0] neg_lo:[0,0,1] neg_hi:[0,0,1]
	v_pk_mul_f32 v[66:67], v[38:39], s[36:37] op_sel_hi:[0,1]
	v_lshl_add_u32 v1, v0, 2, 0
	v_pk_add_f32 v[12:13], v[12:13], v[30:31]
	v_pk_fma_f32 v[30:31], v[36:37], s[12:13], v[66:67] op_sel:[1,0,0] neg_lo:[0,0,1] neg_hi:[0,0,1]
	v_add_u32_e32 v16, 0x200, v1
	v_add_u32_e32 v18, 0x600, v1
	v_pk_add_f32 v[12:13], v[12:13], v[30:31]
	s_waitcnt lgkmcnt(0)
	s_barrier
	ds_read2_b32 v[30:31], v1 offset1:110
	ds_read2_b32 v[34:35], v16 offset0:92 offset1:202
	ds_read2_b32 v[32:33], v18 offset0:56 offset1:166
	v_pk_mul_f32 v[68:69], v[28:29], s[38:39] op_sel_hi:[0,1]
	v_pk_fma_f32 v[72:73], v[26:27], s[2:3], v[68:69] op_sel:[1,0,0] neg_lo:[0,0,1] neg_hi:[0,0,1]
	s_waitcnt lgkmcnt(0)
	v_pk_add_f32 v[12:13], v[12:13], v[72:73]
	s_barrier
	s_and_saveexec_b64 s[18:19], s[0:1]
	s_cbranch_execz .LBB0_15
; %bb.14:
	s_mov_b32 s0, 0x3ed4b147
	v_pk_mul_f32 v[76:77], v[44:45], s[4:5] op_sel:[1,0]
	v_pk_mul_f32 v[86:87], v[44:45], s[14:15] op_sel:[1,0]
	v_mov_b32_e32 v44, v45
	v_mov_b32_e32 v45, v46
	s_mov_b32 s1, 0xbf68dda4
	v_pk_mul_f32 v[46:47], v[44:45], s[0:1]
	v_pk_mul_f32 v[78:79], v[40:41], s[12:13] op_sel:[1,0]
	v_mov_b32_e32 v29, v46
	v_pk_fma_f32 v[44:45], v[44:45], s[0:1], v[28:29]
	s_mov_b32 s0, 0xbe11bafb
	v_pk_mul_f32 v[88:89], v[40:41], s[16:17] op_sel:[1,0]
	v_mov_b32_e32 v40, v41
	v_mov_b32_e32 v41, v42
	s_mov_b32 s1, 0xbf7d64f0
	v_pk_mul_f32 v[42:43], v[40:41], s[0:1]
	v_pk_mul_f32 v[82:83], v[26:27], s[16:17] op_sel:[1,0]
	v_pk_mul_f32 v[92:93], v[26:27], s[2:3] op_sel:[1,0]
	v_sub_f32_e32 v26, v46, v47
	v_mov_b32_e32 v29, v42
	v_mov_b32_e32 v47, 0x3f575c64
	;; [unrolled: 1-line block ×3, first 2 shown]
	v_pk_fma_f32 v[40:41], v[40:41], s[0:1], v[28:29]
	s_mov_b32 s0, 0xbf27a4f4
	v_pk_add_f32 v[24:25], v[70:71], v[46:47]
	v_pk_mul_f32 v[46:47], v[70:71], v[46:47]
	v_pk_mul_f32 v[80:81], v[36:37], s[14:15] op_sel:[1,0]
	v_pk_mul_f32 v[90:91], v[36:37], s[12:13] op_sel:[1,0]
	v_mul_f32_e32 v39, 0xbf0a6770, v14
	v_mov_b32_e32 v36, v37
	v_mov_b32_e32 v37, v38
	s_mov_b32 s1, 0xbf4178ce
	v_fmamk_f32 v14, v14, 0x3f0a6770, v47
	v_sub_f32_e32 v51, v42, v43
	v_pk_mul_f32 v[42:43], v[36:37], s[0:1]
	v_add_f32_e32 v14, v23, v14
	v_mov_b32_e32 v29, v42
	v_add_f32_e32 v14, v14, v26
	v_pk_fma_f32 v[36:37], v[36:37], s[0:1], v[28:29]
	v_mov_b32_e32 v25, v47
	v_mov_b32_e32 v38, v21
	;; [unrolled: 1-line block ×3, first 2 shown]
	v_add_f32_e32 v14, v14, v51
	v_sub_f32_e32 v15, v42, v43
	s_mov_b32 s0, 0xbf75a155
	v_pk_add_f32 v[20:21], v[24:25], v[38:39]
	v_mov_b32_e32 v36, v19
	v_add_f32_e32 v19, v14, v15
	v_mov_b32_e32 v14, v27
	v_mov_b32_e32 v15, v28
	s_mov_b32 s1, 0xbe903f40
	v_mov_b32_e32 v74, v23
	v_mov_b32_e32 v75, v23
	v_pk_add_f32 v[20:21], v[20:21], v[22:23]
	v_pk_mul_f32 v[22:23], v[14:15], s[0:1]
	v_pk_add_f32 v[20:21], v[44:45], v[20:21]
	v_mov_b32_e32 v40, v17
	v_mov_b32_e32 v17, v22
	v_pk_add_f32 v[20:21], v[40:41], v[20:21]
	v_pk_fma_f32 v[14:15], v[14:15], s[0:1], v[16:17]
	v_pk_mul_f32 v[72:73], v[70:71], s[2:3] op_sel:[1,0]
	v_pk_add_f32 v[20:21], v[36:37], v[20:21]
	v_mov_b32_e32 v51, v15
	v_pk_add_f32 v[14:15], v[50:51], v[20:21]
	v_pk_add_f32 v[20:21], v[72:73], v[48:49]
	v_sub_f32_e32 v17, v22, v23
	v_pk_add_f32 v[20:21], v[74:75], v[20:21]
	v_pk_add_f32 v[22:23], v[76:77], v[52:53]
	v_pk_mul_f32 v[84:85], v[70:71], s[4:5] op_sel:[1,0]
	v_pk_add_f32 v[20:21], v[20:21], v[22:23]
	v_pk_add_f32 v[22:23], v[78:79], v[54:55]
	;; [unrolled: 1-line block ×5, first 2 shown]
	v_add_f32_e32 v17, v19, v17
	v_pk_add_f32 v[20:21], v[20:21], v[22:23]
	v_pk_add_f32 v[22:23], v[82:83], v[58:59]
	v_mad_u32_u24 v19, v0, 40, v1
	v_pk_add_f32 v[20:21], v[20:21], v[22:23]
	v_pk_add_f32 v[22:23], v[84:85], v[60:61]
	s_nop 0
	v_pk_add_f32 v[22:23], v[74:75], v[22:23]
	s_nop 0
	v_pk_add_f32 v[22:23], v[22:23], v[24:25]
	v_pk_add_f32 v[24:25], v[88:89], v[64:65]
	s_nop 0
	v_pk_add_f32 v[22:23], v[22:23], v[24:25]
	;; [unrolled: 3-line block ×4, first 2 shown]
	ds_write2_b32 v19, v14, v15 offset1:1
	ds_write2_b32 v19, v21, v20 offset0:2 offset1:3
	ds_write2_b32 v19, v23, v22 offset0:4 offset1:5
	ds_write2_b32 v19, v12, v13 offset0:6 offset1:7
	ds_write2_b32 v19, v10, v11 offset0:8 offset1:9
	ds_write_b32 v19, v17 offset:40
.LBB0_15:
	s_or_b64 exec, exec, s[18:19]
	s_movk_i32 s0, 0x75
	v_mul_lo_u16_sdwa v14, v0, s0 dst_sel:DWORD dst_unused:UNUSED_PAD src0_sel:BYTE_0 src1_sel:DWORD
	v_sub_u16_sdwa v15, v0, v14 dst_sel:DWORD dst_unused:UNUSED_PAD src0_sel:DWORD src1_sel:BYTE_1
	v_lshrrev_b16_e32 v15, 1, v15
	v_and_b32_e32 v15, 0x7f, v15
	v_add_u16_sdwa v14, v15, v14 dst_sel:DWORD dst_unused:UNUSED_PAD src0_sel:DWORD src1_sel:BYTE_1
	v_lshrrev_b16_e32 v22, 3, v14
	v_mul_lo_u16_e32 v14, 11, v22
	v_sub_u16_e32 v25, v0, v14
	v_mov_b32_e32 v14, 5
	v_mul_u32_u24_sdwa v14, v25, v14 dst_sel:DWORD dst_unused:UNUSED_PAD src0_sel:BYTE_0 src1_sel:DWORD
	v_lshlrev_b32_e32 v17, 3, v14
	s_load_dwordx2 s[4:5], s[10:11], 0x0
	s_waitcnt lgkmcnt(0)
	s_barrier
	global_load_dwordx4 v[44:47], v17, s[8:9]
	global_load_dwordx4 v[48:51], v17, s[8:9] offset:16
	global_load_dwordx2 v[14:15], v17, s[8:9] offset:32
	ds_read2_b32 v[20:21], v1 offset1:110
	ds_read2_b32 v[16:17], v16 offset0:92 offset1:202
	ds_read2_b32 v[18:19], v18 offset0:56 offset1:166
	v_mov_b32_e32 v26, 2
	v_mul_u32_u24_e32 v22, 0x108, v22
	v_lshlrev_b32_sdwa v25, v26, v25 dst_sel:DWORD dst_unused:UNUSED_PAD src0_sel:DWORD src1_sel:BYTE_0
	v_add3_u32 v42, 0, v22, v25
	v_mov_b32_e32 v52, 0x3f5db3d7
	v_mov_b32_e32 v23, v31
	s_mov_b32 s2, 0x3f5db3d7
	v_mov_b32_e32 v55, v30
	s_movk_i32 s3, 0x41
	v_mov_b32_e32 v54, v52
	v_mov_b32_e32 v24, v30
	s_movk_i32 s0, 0x42
	v_cmp_gt_u32_e64 s[0:1], s0, v0
	s_waitcnt lgkmcnt(0)
	s_barrier
	s_waitcnt vmcnt(2)
	v_mul_f32_e32 v22, v21, v45
	v_mul_f32_e32 v57, v21, v44
	v_mul_f32_e32 v38, v34, v47
	s_waitcnt vmcnt(1)
	v_mul_f32_e32 v21, v17, v49
	v_mul_f32_e32 v29, v35, v49
	v_mul_f32_e32 v36, v32, v51
	;; [unrolled: 4-line block ×3, first 2 shown]
	v_mul_f32_e32 v25, v18, v51
	v_mul_f32_e32 v27, v33, v15
	v_fmac_f32_e32 v38, v16, v46
	v_fma_f32 v16, v35, v48, -v21
	v_fmac_f32_e32 v29, v17, v48
	v_fmac_f32_e32 v36, v18, v50
	v_fma_f32 v17, v33, v14, -v26
	v_fmac_f32_e32 v27, v19, v14
	v_fma_f32 v31, v31, v44, -v22
	v_fma_f32 v25, v32, v50, -v25
	v_add_f32_e32 v21, v16, v17
	v_pk_add_f32 v[40:41], v[38:39], v[36:37] neg_lo:[0,1] neg_hi:[0,1]
	v_mov_b32_e32 v53, v45
	v_sub_f32_e32 v22, v29, v27
	v_add_f32_e32 v30, v41, v25
	v_pk_add_f32 v[14:15], v[54:55], v[40:41]
	v_pk_mul_f32 v[18:19], v[40:41], s[2:3]
	v_fma_f32 v56, -0.5, v21, v31
	v_add_f32_e32 v26, v29, v27
	v_fmac_f32_e32 v24, -0.5, v30
	v_mov_b32_e32 v19, v15
	v_pk_fma_f32 v[34:35], v[22:23], v[52:53], v[56:57]
	v_sub_f32_e32 v28, v16, v17
	v_pk_add_f32 v[44:45], v[18:19], v[24:25]
	v_sub_f32_e32 v21, v24, v18
	v_fma_f32 v24, -0.5, v26, v35
	v_mov_b32_e32 v37, v56
	v_pk_fma_f32 v[32:33], v[22:23], v[52:53], v[56:57] neg_lo:[1,0,0] neg_hi:[1,0,0]
	v_mov_b32_e32 v53, v16
	v_fmamk_f32 v30, v28, 0xbf5db3d7, v24
	v_fmac_f32_e32 v37, 0x3f5db3d7, v22
	v_pk_add_f32 v[14:15], v[30:31], v[52:53]
	v_pk_mul_f32 v[18:19], v[30:31], s[2:3]
	v_mul_f32_e32 v22, -0.5, v32
	v_fmac_f32_e32 v24, 0x3f5db3d7, v28
	v_mul_f32_e32 v16, 0.5, v37
	v_mov_b32_e32 v19, v15
	v_fmac_f32_e32 v22, 0x3f5db3d7, v24
	v_pk_add_f32 v[18:19], v[18:19], v[16:17]
	v_add_f32_e32 v14, v21, v22
	v_sub_f32_e32 v23, v21, v22
	v_pk_add_f32 v[16:17], v[44:45], v[18:19]
	v_pk_add_f32 v[18:19], v[44:45], v[18:19] neg_lo:[0,1] neg_hi:[0,1]
	v_cmp_lt_u32_e64 s[2:3], s3, v0
	ds_write2_b32 v42, v17, v16 offset1:11
	ds_write2_b32 v42, v14, v19 offset0:22 offset1:33
	ds_write2_b32 v42, v18, v23 offset0:44 offset1:55
	s_waitcnt lgkmcnt(0)
	s_barrier
	s_and_saveexec_b64 s[10:11], s[2:3]
	s_xor_b64 s[10:11], exec, s[10:11]
	s_andn2_saveexec_b64 s[10:11], s[10:11]
	s_cbranch_execz .LBB0_17
; %bb.16:
	v_add_u32_e32 v6, 0x400, v1
	ds_read2_b32 v[18:19], v1 offset1:66
	ds_read2_b32 v[14:15], v1 offset0:132 offset1:198
	ds_read2_b32 v[22:23], v6 offset0:8 offset1:74
	;; [unrolled: 1-line block ×3, first 2 shown]
	v_add_u32_e32 v6, 0x800, v1
	ds_read2_b32 v[6:7], v6 offset0:16 offset1:82
	s_waitcnt lgkmcnt(4)
	v_mov_b32_e32 v16, v19
	v_mov_b32_e32 v17, v18
	s_waitcnt lgkmcnt(2)
	v_mov_b32_e32 v18, v22
	v_mov_b32_e32 v19, v15
.LBB0_17:
	s_or_b64 exec, exec, s[10:11]
	v_add_f32_e32 v15, v38, v36
	v_add_f32_e32 v21, v20, v38
	v_fmac_f32_e32 v20, -0.5, v15
	v_sub_f32_e32 v15, v41, v25
	v_mul_f32_e32 v38, 0x3f5db3d7, v15
	v_mov_b32_e32 v39, v36
	v_mov_b32_e32 v28, 0xbf5db3d7
	s_mov_b32 s10, 0xbf5db3d7
	v_mov_b32_e32 v22, v20
	v_pk_add_f32 v[38:39], v[20:21], v[38:39]
	v_pk_add_f32 v[20:21], v[34:35], v[28:29]
	v_mul_f32_e32 v26, 0.5, v24
	v_fmac_f32_e32 v22, 0xbf5db3d7, v15
	v_pk_add_f32 v[24:25], v[20:21], v[26:27]
	v_pk_fma_f32 v[32:33], v[32:33], s[10:11], v[26:27] neg_lo:[0,0,1] neg_hi:[0,0,1]
	v_mul_f32_e32 v15, 0xbf5db3d7, v37
	v_mov_b32_e32 v33, v25
	v_fmac_f32_e32 v15, 0.5, v30
	v_pk_add_f32 v[20:21], v[38:39], v[32:33]
	v_sub_f32_e32 v29, v39, v25
	v_mov_b32_e32 v39, v22
	v_mov_b32_e32 v33, v15
	v_add_f32_e32 v27, v22, v15
	v_pk_add_f32 v[24:25], v[38:39], v[32:33] neg_lo:[0,1] neg_hi:[0,1]
	s_waitcnt lgkmcnt(0)
	s_barrier
	ds_write2_b32 v42, v21, v27 offset1:11
	ds_write2_b32 v42, v20, v29 offset0:22 offset1:33
	ds_write2_b32 v42, v25, v24 offset0:44 offset1:55
	s_waitcnt lgkmcnt(0)
	s_barrier
	s_and_saveexec_b64 s[10:11], s[2:3]
	s_xor_b64 s[2:3], exec, s[10:11]
	s_cbranch_execnz .LBB0_21
; %bb.18:
	s_andn2_saveexec_b64 s[2:3], s[2:3]
	s_cbranch_execnz .LBB0_22
.LBB0_19:
	s_or_b64 exec, exec, s[2:3]
	s_and_b64 s[0:1], vcc, s[0:1]
	s_and_saveexec_b64 s[2:3], s[0:1]
	s_cbranch_execnz .LBB0_23
.LBB0_20:
	s_endpgm
.LBB0_21:
                                        ; implicit-def: $vgpr1
	s_andn2_saveexec_b64 s[2:3], s[2:3]
	s_cbranch_execz .LBB0_19
.LBB0_22:
	ds_read2_b32 v[26:27], v1 offset1:66
	ds_read2_b32 v[28:29], v1 offset0:132 offset1:198
	v_add_u32_e32 v10, 0x400, v1
	v_add_u32_e32 v1, 0x800, v1
	ds_read2_b32 v[30:31], v10 offset0:8 offset1:74
	ds_read2_b32 v[12:13], v10 offset0:140 offset1:206
	;; [unrolled: 1-line block ×3, first 2 shown]
	s_waitcnt lgkmcnt(3)
	v_mov_b32_e32 v20, v28
	v_mov_b32_e32 v21, v26
	s_waitcnt lgkmcnt(2)
	v_mov_b32_e32 v24, v31
	v_mov_b32_e32 v25, v30
	s_or_b64 exec, exec, s[2:3]
	s_and_b64 s[0:1], vcc, s[0:1]
	s_and_saveexec_b64 s[2:3], s[0:1]
	s_cbranch_execz .LBB0_20
.LBB0_23:
	v_mul_u32_u24_e32 v1, 9, v0
	v_lshlrev_b32_e32 v1, 3, v1
	global_load_dwordx4 v[30:33], v1, s[8:9] offset:456
	global_load_dwordx4 v[34:37], v1, s[8:9] offset:440
	;; [unrolled: 1-line block ×4, first 2 shown]
	global_load_dwordx2 v[46:47], v1, s[8:9] offset:504
	v_mul_lo_u32 v15, s5, v4
	v_mul_lo_u32 v49, s4, v5
	v_mad_u64_u32 v[4:5], s[0:1], s4, v4, 0
	v_add3_u32 v5, v5, v49, v15
	v_lshl_add_u64 v[4:5], v[4:5], 3, s[6:7]
	v_mov_b32_e32 v1, 0
	v_mov_b32_e32 v22, v29
	;; [unrolled: 1-line block ×3, first 2 shown]
	v_lshl_add_u64 v[2:3], v[2:3], 3, v[4:5]
	v_mov_b32_e32 v26, v23
	v_mov_b32_e32 v28, v23
	v_lshl_add_u64 v[0:1], v[0:1], 3, v[2:3]
	s_mov_b32 s2, 0x3f737871
	s_mov_b32 s0, 0x3f167918
	;; [unrolled: 1-line block ×6, first 2 shown]
	s_waitcnt vmcnt(4)
	v_pk_mul_f32 v[2:3], v[24:25], v[32:33] op_sel:[1,0]
	s_waitcnt vmcnt(3)
	v_pk_mul_f32 v[4:5], v[20:21], v[36:37] op_sel_hi:[0,1]
	s_waitcnt vmcnt(2) lgkmcnt(1)
	v_pk_mul_f32 v[50:51], v[12:13], v[40:41] op_sel_hi:[0,1]
	s_waitcnt vmcnt(1) lgkmcnt(0)
	v_pk_mul_f32 v[52:53], v[10:11], v[44:45] op_sel_hi:[0,1]
	v_pk_mul_f32 v[22:23], v[22:23], v[30:31] op_sel_hi:[0,1]
	;; [unrolled: 1-line block ×3, first 2 shown]
	s_waitcnt vmcnt(0)
	v_pk_mul_f32 v[10:11], v[10:11], v[46:47] op_sel:[1,0]
	v_pk_mul_f32 v[12:13], v[12:13], v[42:43] op_sel:[1,0]
	v_pk_mul_f32 v[48:49], v[48:49], v[34:35] op_sel_hi:[0,1]
	v_mov_b32_e32 v20, v17
	v_pk_fma_f32 v[54:55], v[18:19], v[32:33], v[2:3] op_sel:[0,0,1] op_sel_hi:[1,1,0] neg_lo:[0,0,1] neg_hi:[0,0,1]
	v_pk_fma_f32 v[2:3], v[18:19], v[32:33], v[2:3] op_sel:[0,0,1] op_sel_hi:[0,1,0]
	v_pk_fma_f32 v[32:33], v[14:15], v[36:37], v[4:5] op_sel:[0,0,1] op_sel_hi:[1,1,0] neg_lo:[0,0,1] neg_hi:[0,0,1]
	v_pk_fma_f32 v[4:5], v[14:15], v[36:37], v[4:5] op_sel:[0,0,1] op_sel_hi:[0,1,0]
	;; [unrolled: 2-line block ×5, first 2 shown]
	v_pk_fma_f32 v[22:23], v[26:27], v[38:39], v[24:25] op_sel:[0,0,1] op_sel_hi:[1,1,0] neg_lo:[0,0,1] neg_hi:[0,0,1]
	v_pk_fma_f32 v[26:27], v[6:7], v[46:47], v[10:11] op_sel:[1,0,1] op_sel_hi:[1,1,0] neg_lo:[0,0,1] neg_hi:[0,0,1]
	v_pk_fma_f32 v[6:7], v[6:7], v[46:47], v[10:11] op_sel:[1,0,1] op_sel_hi:[1,1,0]
	v_pk_fma_f32 v[10:11], v[8:9], v[42:43], v[12:13] op_sel:[1,0,1] op_sel_hi:[1,1,0] neg_lo:[0,0,1] neg_hi:[0,0,1]
	v_pk_fma_f32 v[8:9], v[8:9], v[42:43], v[12:13] op_sel:[1,0,1] op_sel_hi:[1,1,0]
	;; [unrolled: 2-line block ×3, first 2 shown]
	v_pk_fma_f32 v[24:25], v[28:29], v[38:39], v[24:25] op_sel:[0,0,1] op_sel_hi:[0,1,0]
	v_mov_b32_e32 v51, v19
	v_mov_b32_e32 v13, v17
	;; [unrolled: 1-line block ×4, first 2 shown]
	v_pk_add_f32 v[4:5], v[50:51], v[12:13]
	v_mov_b32_e32 v27, v7
	v_mov_b32_e32 v11, v9
	v_pk_add_f32 v[4:5], v[22:23], v[4:5]
	v_mov_b32_e32 v55, v3
	v_mov_b32_e32 v15, v37
	v_pk_add_f32 v[2:3], v[20:21], v[32:33]
	v_pk_add_f32 v[30:31], v[22:23], v[10:11]
	v_pk_add_f32 v[34:35], v[22:23], v[10:11] neg_lo:[0,1] neg_hi:[0,1]
	v_pk_add_f32 v[36:37], v[50:51], v[22:23] neg_lo:[0,1] neg_hi:[0,1]
	;; [unrolled: 1-line block ×3, first 2 shown]
	v_pk_add_f32 v[4:5], v[10:11], v[4:5]
	v_pk_add_f32 v[22:23], v[22:23], v[50:51] neg_lo:[0,1] neg_hi:[0,1]
	v_pk_add_f32 v[10:11], v[10:11], v[26:27] neg_lo:[0,1] neg_hi:[0,1]
	v_mov_b32_e32 v41, v45
	v_pk_add_f32 v[2:3], v[2:3], v[54:55]
	v_pk_add_f32 v[10:11], v[22:23], v[10:11]
	v_pk_add_f32 v[22:23], v[50:51], v[26:27]
	v_pk_add_f32 v[6:7], v[54:55], v[14:15]
	v_pk_add_f32 v[16:17], v[54:55], v[14:15] neg_lo:[0,1] neg_hi:[0,1]
	v_pk_add_f32 v[24:25], v[40:41], v[14:15] neg_lo:[0,1] neg_hi:[0,1]
	v_pk_fma_f32 v[30:31], v[30:31], 0.5, v[12:13] op_sel_hi:[1,0,1] neg_lo:[1,0,0] neg_hi:[1,0,0]
	v_pk_add_f32 v[2:3], v[2:3], v[14:15]
	v_pk_fma_f32 v[12:13], v[22:23], 0.5, v[12:13] op_sel_hi:[1,0,1] neg_lo:[1,0,0] neg_hi:[1,0,0]
	v_pk_add_f32 v[22:23], v[54:55], v[32:33] neg_lo:[0,1] neg_hi:[0,1]
	v_pk_add_f32 v[14:15], v[14:15], v[40:41] neg_lo:[0,1] neg_hi:[0,1]
	;; [unrolled: 1-line block ×3, first 2 shown]
	v_pk_add_f32 v[14:15], v[22:23], v[14:15]
	v_pk_add_f32 v[22:23], v[32:33], v[40:41]
	v_pk_add_f32 v[28:29], v[50:51], v[26:27] neg_lo:[0,1] neg_hi:[0,1]
	v_pk_fma_f32 v[6:7], v[6:7], 0.5, v[20:21] op_sel_hi:[1,0,1] neg_lo:[1,0,0] neg_hi:[1,0,0]
	v_pk_fma_f32 v[20:21], v[22:23], 0.5, v[20:21] op_sel_hi:[1,0,1] neg_lo:[1,0,0] neg_hi:[1,0,0]
	v_pk_mul_f32 v[22:23], v[34:35], s[2:3] op_sel_hi:[1,0]
	v_pk_add_f32 v[18:19], v[18:19], v[24:25]
	v_pk_mul_f32 v[24:25], v[28:29], s[2:3] op_sel_hi:[1,0]
	v_pk_add_f32 v[4:5], v[26:27], v[4:5]
	v_pk_mul_f32 v[26:27], v[28:29], s[0:1] op_sel_hi:[1,0]
	v_pk_add_f32 v[28:29], v[12:13], v[22:23] op_sel:[0,1] op_sel_hi:[1,0] neg_lo:[0,1] neg_hi:[0,1]
	v_pk_add_f32 v[12:13], v[12:13], v[22:23] op_sel:[0,1] op_sel_hi:[1,0]
	v_pk_add_f32 v[8:9], v[32:33], v[40:41] neg_lo:[0,1] neg_hi:[0,1]
	v_pk_mul_f32 v[44:45], v[16:17], s[0:1] op_sel_hi:[1,0]
	v_pk_add_f32 v[2:3], v[40:41], v[2:3]
	v_pk_mul_f32 v[16:17], v[16:17], s[2:3] op_sel_hi:[1,0]
	v_pk_add_f32 v[12:13], v[12:13], v[26:27] op_sel:[0,1] op_sel_hi:[1,0] neg_lo:[0,1] neg_hi:[0,1]
	v_pk_add_f32 v[22:23], v[28:29], v[26:27] op_sel:[0,1] op_sel_hi:[1,0]
	v_pk_mul_f32 v[42:43], v[8:9], s[2:3] op_sel_hi:[1,0]
	v_pk_mul_f32 v[46:47], v[34:35], s[0:1] op_sel_hi:[1,0]
	v_pk_add_f32 v[36:37], v[36:37], v[38:39]
	v_pk_add_f32 v[38:39], v[30:31], v[24:25] op_sel:[0,1] op_sel_hi:[1,0]
	v_pk_add_f32 v[24:25], v[30:31], v[24:25] op_sel:[0,1] op_sel_hi:[1,0] neg_lo:[0,1] neg_hi:[0,1]
	v_pk_add_f32 v[30:31], v[2:3], v[4:5]
	v_pk_mul_f32 v[8:9], v[8:9], s[0:1] op_sel_hi:[1,0]
	v_mov_b32_e32 v26, v22
	v_mov_b32_e32 v27, v13
	v_pk_add_f32 v[28:29], v[20:21], v[16:17] op_sel:[0,1] op_sel_hi:[1,0] neg_lo:[0,1] neg_hi:[0,1]
	v_pk_add_f32 v[16:17], v[20:21], v[16:17] op_sel:[0,1] op_sel_hi:[1,0]
	v_mov_b32_e32 v13, v23
	v_pk_add_f32 v[24:25], v[24:25], v[46:47] op_sel:[0,1] op_sel_hi:[1,0] neg_lo:[0,1] neg_hi:[0,1]
	global_store_dwordx2 v[0:1], v[30:31], off
	v_pk_add_f32 v[30:31], v[38:39], v[46:47] op_sel:[0,1] op_sel_hi:[1,0]
	v_pk_fma_f32 v[26:27], v[10:11], s[4:5], v[26:27] op_sel_hi:[1,0,1]
	v_pk_add_f32 v[16:17], v[16:17], v[8:9] op_sel:[0,1] op_sel_hi:[1,0] neg_lo:[0,1] neg_hi:[0,1]
	v_pk_add_f32 v[8:9], v[28:29], v[8:9] op_sel:[0,1] op_sel_hi:[1,0]
	v_pk_fma_f32 v[10:11], v[10:11], s[4:5], v[12:13] op_sel_hi:[1,0,1]
	v_mov_b32_e32 v38, v30
	v_mov_b32_e32 v39, v25
	;; [unrolled: 1-line block ×4, first 2 shown]
	v_pk_mul_f32 v[12:13], v[10:11], s[4:5] op_sel_hi:[1,0]
	v_pk_fma_f32 v[38:39], v[36:37], s[4:5], v[38:39] op_sel_hi:[1,0,1]
	v_pk_add_f32 v[46:47], v[6:7], v[42:43] op_sel:[0,1] op_sel_hi:[1,0]
	v_pk_add_f32 v[6:7], v[6:7], v[42:43] op_sel:[0,1] op_sel_hi:[1,0] neg_lo:[0,1] neg_hi:[0,1]
	v_mov_b32_e32 v20, v8
	v_pk_fma_f32 v[8:9], v[14:15], s[4:5], v[16:17] op_sel_hi:[1,0,1]
	v_pk_fma_f32 v[10:11], v[10:11], s[8:9], v[12:13] op_sel:[0,0,1] op_sel_hi:[1,1,0] neg_lo:[0,0,1] neg_hi:[0,0,1]
	v_pk_add_f32 v[6:7], v[6:7], v[44:45] op_sel:[0,1] op_sel_hi:[1,0] neg_lo:[0,1] neg_hi:[0,1]
	v_pk_add_f32 v[42:43], v[46:47], v[44:45] op_sel:[0,1] op_sel_hi:[1,0]
	v_pk_mul_f32 v[46:47], v[38:39], s[0:1] op_sel_hi:[1,0]
	v_pk_add_f32 v[12:13], v[8:9], v[10:11] op_sel:[0,1] op_sel_hi:[1,0]
	v_mov_b32_e32 v25, v31
	v_mov_b32_e32 v44, v42
	;; [unrolled: 1-line block ×3, first 2 shown]
	v_pk_fma_f32 v[48:49], v[38:39], s[6:7], v[46:47] op_sel:[0,0,1] op_sel_hi:[1,0,0]
	v_pk_fma_f32 v[38:39], v[38:39], s[6:7], v[46:47] op_sel:[0,0,1] op_sel_hi:[1,0,0] neg_lo:[0,0,1] neg_hi:[0,0,1]
	v_pk_mul_f32 v[28:29], v[26:27], s[2:3] op_sel_hi:[1,0]
	global_store_dwordx2 v[0:1], v[12:13], off offset:1584
	v_pk_fma_f32 v[12:13], v[36:37], s[4:5], v[24:25] op_sel_hi:[1,0,1]
	v_pk_fma_f32 v[44:45], v[18:19], s[4:5], v[44:45] op_sel_hi:[1,0,1]
	v_mov_b32_e32 v49, v39
	v_pk_fma_f32 v[20:21], v[14:15], s[4:5], v[20:21] op_sel_hi:[1,0,1]
	v_pk_fma_f32 v[32:33], v[26:27], s[4:5], v[28:29] op_sel:[0,0,1] op_sel_hi:[1,0,0]
	v_pk_fma_f32 v[26:27], v[26:27], s[4:5], v[28:29] op_sel:[0,0,1] op_sel_hi:[1,0,0] neg_lo:[0,0,1] neg_hi:[0,0,1]
	v_mov_b32_e32 v7, v43
	s_mov_b32 s2, 0xbf167918
	s_mov_b32 s3, s0
	v_pk_mul_f32 v[14:15], v[12:13], s[6:7] op_sel_hi:[1,0]
	v_pk_add_f32 v[2:3], v[2:3], v[4:5] neg_lo:[0,1] neg_hi:[0,1]
	v_mov_b32_e32 v33, v27
	v_pk_fma_f32 v[6:7], v[18:19], s[4:5], v[6:7] op_sel_hi:[1,0,1]
	v_pk_fma_f32 v[12:13], v[12:13], s[2:3], v[14:15] op_sel:[0,0,1] op_sel_hi:[1,1,0] neg_lo:[0,0,1] neg_hi:[0,0,1]
	global_store_dwordx2 v[0:1], v[2:3], off offset:2640
	v_pk_add_f32 v[2:3], v[44:45], v[48:49] neg_lo:[0,1] neg_hi:[0,1]
	v_pk_add_f32 v[38:39], v[44:45], v[48:49]
	v_pk_add_f32 v[26:27], v[20:21], v[32:33]
	v_pk_add_f32 v[14:15], v[6:7], v[12:13] op_sel:[0,1] op_sel_hi:[1,0]
	global_store_dwordx2 v[0:1], v[2:3], off offset:3168
	v_pk_add_f32 v[2:3], v[20:21], v[32:33] neg_lo:[0,1] neg_hi:[0,1]
	global_store_dwordx2 v[0:1], v[38:39], off offset:528
	global_store_dwordx2 v[0:1], v[26:27], off offset:1056
	;; [unrolled: 1-line block ×4, first 2 shown]
	v_add_co_u32_e32 v0, vcc, 0x1000, v0
	v_pk_add_f32 v[2:3], v[8:9], v[10:11] op_sel:[0,1] op_sel_hi:[1,0] neg_lo:[0,1] neg_hi:[0,1]
	s_nop 0
	v_addc_co_u32_e32 v1, vcc, 0, v1, vcc
	global_store_dwordx2 v[0:1], v[2:3], off offset:128
	v_pk_add_f32 v[2:3], v[6:7], v[12:13] op_sel:[0,1] op_sel_hi:[1,0] neg_lo:[0,1] neg_hi:[0,1]
	global_store_dwordx2 v[0:1], v[2:3], off offset:656
	s_endpgm
	.section	.rodata,"a",@progbits
	.p2align	6, 0x0
	.amdhsa_kernel fft_rtc_fwd_len660_factors_11_6_10_wgs_110_tpt_110_halfLds_sp_op_CI_CI_unitstride_sbrr_dirReg
		.amdhsa_group_segment_fixed_size 0
		.amdhsa_private_segment_fixed_size 0
		.amdhsa_kernarg_size 104
		.amdhsa_user_sgpr_count 2
		.amdhsa_user_sgpr_dispatch_ptr 0
		.amdhsa_user_sgpr_queue_ptr 0
		.amdhsa_user_sgpr_kernarg_segment_ptr 1
		.amdhsa_user_sgpr_dispatch_id 0
		.amdhsa_user_sgpr_kernarg_preload_length 0
		.amdhsa_user_sgpr_kernarg_preload_offset 0
		.amdhsa_user_sgpr_private_segment_size 0
		.amdhsa_uses_dynamic_stack 0
		.amdhsa_enable_private_segment 0
		.amdhsa_system_sgpr_workgroup_id_x 1
		.amdhsa_system_sgpr_workgroup_id_y 0
		.amdhsa_system_sgpr_workgroup_id_z 0
		.amdhsa_system_sgpr_workgroup_info 0
		.amdhsa_system_vgpr_workitem_id 0
		.amdhsa_next_free_vgpr 96
		.amdhsa_next_free_sgpr 44
		.amdhsa_accum_offset 96
		.amdhsa_reserve_vcc 1
		.amdhsa_float_round_mode_32 0
		.amdhsa_float_round_mode_16_64 0
		.amdhsa_float_denorm_mode_32 3
		.amdhsa_float_denorm_mode_16_64 3
		.amdhsa_dx10_clamp 1
		.amdhsa_ieee_mode 1
		.amdhsa_fp16_overflow 0
		.amdhsa_tg_split 0
		.amdhsa_exception_fp_ieee_invalid_op 0
		.amdhsa_exception_fp_denorm_src 0
		.amdhsa_exception_fp_ieee_div_zero 0
		.amdhsa_exception_fp_ieee_overflow 0
		.amdhsa_exception_fp_ieee_underflow 0
		.amdhsa_exception_fp_ieee_inexact 0
		.amdhsa_exception_int_div_zero 0
	.end_amdhsa_kernel
	.text
.Lfunc_end0:
	.size	fft_rtc_fwd_len660_factors_11_6_10_wgs_110_tpt_110_halfLds_sp_op_CI_CI_unitstride_sbrr_dirReg, .Lfunc_end0-fft_rtc_fwd_len660_factors_11_6_10_wgs_110_tpt_110_halfLds_sp_op_CI_CI_unitstride_sbrr_dirReg
                                        ; -- End function
	.section	.AMDGPU.csdata,"",@progbits
; Kernel info:
; codeLenInByte = 5864
; NumSgprs: 50
; NumVgprs: 96
; NumAgprs: 0
; TotalNumVgprs: 96
; ScratchSize: 0
; MemoryBound: 0
; FloatMode: 240
; IeeeMode: 1
; LDSByteSize: 0 bytes/workgroup (compile time only)
; SGPRBlocks: 6
; VGPRBlocks: 11
; NumSGPRsForWavesPerEU: 50
; NumVGPRsForWavesPerEU: 96
; AccumOffset: 96
; Occupancy: 5
; WaveLimiterHint : 1
; COMPUTE_PGM_RSRC2:SCRATCH_EN: 0
; COMPUTE_PGM_RSRC2:USER_SGPR: 2
; COMPUTE_PGM_RSRC2:TRAP_HANDLER: 0
; COMPUTE_PGM_RSRC2:TGID_X_EN: 1
; COMPUTE_PGM_RSRC2:TGID_Y_EN: 0
; COMPUTE_PGM_RSRC2:TGID_Z_EN: 0
; COMPUTE_PGM_RSRC2:TIDIG_COMP_CNT: 0
; COMPUTE_PGM_RSRC3_GFX90A:ACCUM_OFFSET: 23
; COMPUTE_PGM_RSRC3_GFX90A:TG_SPLIT: 0
	.text
	.p2alignl 6, 3212836864
	.fill 256, 4, 3212836864
	.type	__hip_cuid_30a75c47829bceb8,@object ; @__hip_cuid_30a75c47829bceb8
	.section	.bss,"aw",@nobits
	.globl	__hip_cuid_30a75c47829bceb8
__hip_cuid_30a75c47829bceb8:
	.byte	0                               ; 0x0
	.size	__hip_cuid_30a75c47829bceb8, 1

	.ident	"AMD clang version 19.0.0git (https://github.com/RadeonOpenCompute/llvm-project roc-6.4.0 25133 c7fe45cf4b819c5991fe208aaa96edf142730f1d)"
	.section	".note.GNU-stack","",@progbits
	.addrsig
	.addrsig_sym __hip_cuid_30a75c47829bceb8
	.amdgpu_metadata
---
amdhsa.kernels:
  - .agpr_count:     0
    .args:
      - .actual_access:  read_only
        .address_space:  global
        .offset:         0
        .size:           8
        .value_kind:     global_buffer
      - .offset:         8
        .size:           8
        .value_kind:     by_value
      - .actual_access:  read_only
        .address_space:  global
        .offset:         16
        .size:           8
        .value_kind:     global_buffer
      - .actual_access:  read_only
        .address_space:  global
        .offset:         24
        .size:           8
        .value_kind:     global_buffer
      - .actual_access:  read_only
        .address_space:  global
        .offset:         32
        .size:           8
        .value_kind:     global_buffer
      - .offset:         40
        .size:           8
        .value_kind:     by_value
      - .actual_access:  read_only
        .address_space:  global
        .offset:         48
        .size:           8
        .value_kind:     global_buffer
      - .actual_access:  read_only
        .address_space:  global
        .offset:         56
        .size:           8
        .value_kind:     global_buffer
      - .offset:         64
        .size:           4
        .value_kind:     by_value
      - .actual_access:  read_only
        .address_space:  global
        .offset:         72
        .size:           8
        .value_kind:     global_buffer
      - .actual_access:  read_only
        .address_space:  global
        .offset:         80
        .size:           8
        .value_kind:     global_buffer
      - .actual_access:  read_only
        .address_space:  global
        .offset:         88
        .size:           8
        .value_kind:     global_buffer
      - .actual_access:  write_only
        .address_space:  global
        .offset:         96
        .size:           8
        .value_kind:     global_buffer
    .group_segment_fixed_size: 0
    .kernarg_segment_align: 8
    .kernarg_segment_size: 104
    .language:       OpenCL C
    .language_version:
      - 2
      - 0
    .max_flat_workgroup_size: 110
    .name:           fft_rtc_fwd_len660_factors_11_6_10_wgs_110_tpt_110_halfLds_sp_op_CI_CI_unitstride_sbrr_dirReg
    .private_segment_fixed_size: 0
    .sgpr_count:     50
    .sgpr_spill_count: 0
    .symbol:         fft_rtc_fwd_len660_factors_11_6_10_wgs_110_tpt_110_halfLds_sp_op_CI_CI_unitstride_sbrr_dirReg.kd
    .uniform_work_group_size: 1
    .uses_dynamic_stack: false
    .vgpr_count:     96
    .vgpr_spill_count: 0
    .wavefront_size: 64
amdhsa.target:   amdgcn-amd-amdhsa--gfx950
amdhsa.version:
  - 1
  - 2
...

	.end_amdgpu_metadata
